;; amdgpu-corpus repo=ROCm/rocFFT kind=compiled arch=gfx1030 opt=O3
	.text
	.amdgcn_target "amdgcn-amd-amdhsa--gfx1030"
	.amdhsa_code_object_version 6
	.protected	fft_rtc_fwd_len2500_factors_10_5_10_5_wgs_250_tpt_250_halfLds_half_ip_CI_sbrr_dirReg ; -- Begin function fft_rtc_fwd_len2500_factors_10_5_10_5_wgs_250_tpt_250_halfLds_half_ip_CI_sbrr_dirReg
	.globl	fft_rtc_fwd_len2500_factors_10_5_10_5_wgs_250_tpt_250_halfLds_half_ip_CI_sbrr_dirReg
	.p2align	8
	.type	fft_rtc_fwd_len2500_factors_10_5_10_5_wgs_250_tpt_250_halfLds_half_ip_CI_sbrr_dirReg,@function
fft_rtc_fwd_len2500_factors_10_5_10_5_wgs_250_tpt_250_halfLds_half_ip_CI_sbrr_dirReg: ; @fft_rtc_fwd_len2500_factors_10_5_10_5_wgs_250_tpt_250_halfLds_half_ip_CI_sbrr_dirReg
; %bb.0:
	s_clause 0x2
	s_load_dwordx2 s[14:15], s[4:5], 0x18
	s_load_dwordx4 s[8:11], s[4:5], 0x0
	s_load_dwordx2 s[12:13], s[4:5], 0x50
	v_mul_u32_u24_e32 v1, 0x107, v0
	v_mov_b32_e32 v3, 0
	v_add_nc_u32_sdwa v5, s6, v1 dst_sel:DWORD dst_unused:UNUSED_PAD src0_sel:DWORD src1_sel:WORD_1
	v_mov_b32_e32 v1, 0
	v_mov_b32_e32 v6, v3
	v_mov_b32_e32 v2, 0
	s_waitcnt lgkmcnt(0)
	s_load_dwordx2 s[2:3], s[14:15], 0x0
	v_cmp_lt_u64_e64 s0, s[10:11], 2
	s_and_b32 vcc_lo, exec_lo, s0
	s_cbranch_vccnz .LBB0_8
; %bb.1:
	s_load_dwordx2 s[0:1], s[4:5], 0x10
	v_mov_b32_e32 v1, 0
	s_add_u32 s6, s14, 8
	v_mov_b32_e32 v2, 0
	s_addc_u32 s7, s15, 0
	s_mov_b64 s[18:19], 1
	s_waitcnt lgkmcnt(0)
	s_add_u32 s16, s0, 8
	s_addc_u32 s17, s1, 0
.LBB0_2:                                ; =>This Inner Loop Header: Depth=1
	s_load_dwordx2 s[20:21], s[16:17], 0x0
                                        ; implicit-def: $vgpr7_vgpr8
	s_mov_b32 s0, exec_lo
	s_waitcnt lgkmcnt(0)
	v_or_b32_e32 v4, s21, v6
	v_cmpx_ne_u64_e32 0, v[3:4]
	s_xor_b32 s1, exec_lo, s0
	s_cbranch_execz .LBB0_4
; %bb.3:                                ;   in Loop: Header=BB0_2 Depth=1
	v_cvt_f32_u32_e32 v4, s20
	v_cvt_f32_u32_e32 v7, s21
	s_sub_u32 s0, 0, s20
	s_subb_u32 s22, 0, s21
	v_fmac_f32_e32 v4, 0x4f800000, v7
	v_rcp_f32_e32 v4, v4
	v_mul_f32_e32 v4, 0x5f7ffffc, v4
	v_mul_f32_e32 v7, 0x2f800000, v4
	v_trunc_f32_e32 v7, v7
	v_fmac_f32_e32 v4, 0xcf800000, v7
	v_cvt_u32_f32_e32 v7, v7
	v_cvt_u32_f32_e32 v4, v4
	v_mul_lo_u32 v8, s0, v7
	v_mul_hi_u32 v9, s0, v4
	v_mul_lo_u32 v10, s22, v4
	v_add_nc_u32_e32 v8, v9, v8
	v_mul_lo_u32 v9, s0, v4
	v_add_nc_u32_e32 v8, v8, v10
	v_mul_hi_u32 v10, v4, v9
	v_mul_lo_u32 v11, v4, v8
	v_mul_hi_u32 v12, v4, v8
	v_mul_hi_u32 v13, v7, v9
	v_mul_lo_u32 v9, v7, v9
	v_mul_hi_u32 v14, v7, v8
	v_mul_lo_u32 v8, v7, v8
	v_add_co_u32 v10, vcc_lo, v10, v11
	v_add_co_ci_u32_e32 v11, vcc_lo, 0, v12, vcc_lo
	v_add_co_u32 v9, vcc_lo, v10, v9
	v_add_co_ci_u32_e32 v9, vcc_lo, v11, v13, vcc_lo
	v_add_co_ci_u32_e32 v10, vcc_lo, 0, v14, vcc_lo
	v_add_co_u32 v8, vcc_lo, v9, v8
	v_add_co_ci_u32_e32 v9, vcc_lo, 0, v10, vcc_lo
	v_add_co_u32 v4, vcc_lo, v4, v8
	v_add_co_ci_u32_e32 v7, vcc_lo, v7, v9, vcc_lo
	v_mul_hi_u32 v8, s0, v4
	v_mul_lo_u32 v10, s22, v4
	v_mul_lo_u32 v9, s0, v7
	v_add_nc_u32_e32 v8, v8, v9
	v_mul_lo_u32 v9, s0, v4
	v_add_nc_u32_e32 v8, v8, v10
	v_mul_hi_u32 v10, v4, v9
	v_mul_lo_u32 v11, v4, v8
	v_mul_hi_u32 v12, v4, v8
	v_mul_hi_u32 v13, v7, v9
	v_mul_lo_u32 v9, v7, v9
	v_mul_hi_u32 v14, v7, v8
	v_mul_lo_u32 v8, v7, v8
	v_add_co_u32 v10, vcc_lo, v10, v11
	v_add_co_ci_u32_e32 v11, vcc_lo, 0, v12, vcc_lo
	v_add_co_u32 v9, vcc_lo, v10, v9
	v_add_co_ci_u32_e32 v9, vcc_lo, v11, v13, vcc_lo
	v_add_co_ci_u32_e32 v10, vcc_lo, 0, v14, vcc_lo
	v_add_co_u32 v8, vcc_lo, v9, v8
	v_add_co_ci_u32_e32 v9, vcc_lo, 0, v10, vcc_lo
	v_add_co_u32 v4, vcc_lo, v4, v8
	v_add_co_ci_u32_e32 v11, vcc_lo, v7, v9, vcc_lo
	v_mul_hi_u32 v13, v5, v4
	v_mad_u64_u32 v[9:10], null, v6, v4, 0
	v_mad_u64_u32 v[7:8], null, v5, v11, 0
	;; [unrolled: 1-line block ×3, first 2 shown]
	v_add_co_u32 v4, vcc_lo, v13, v7
	v_add_co_ci_u32_e32 v7, vcc_lo, 0, v8, vcc_lo
	v_add_co_u32 v4, vcc_lo, v4, v9
	v_add_co_ci_u32_e32 v4, vcc_lo, v7, v10, vcc_lo
	v_add_co_ci_u32_e32 v7, vcc_lo, 0, v12, vcc_lo
	v_add_co_u32 v4, vcc_lo, v4, v11
	v_add_co_ci_u32_e32 v9, vcc_lo, 0, v7, vcc_lo
	v_mul_lo_u32 v10, s21, v4
	v_mad_u64_u32 v[7:8], null, s20, v4, 0
	v_mul_lo_u32 v11, s20, v9
	v_sub_co_u32 v7, vcc_lo, v5, v7
	v_add3_u32 v8, v8, v11, v10
	v_sub_nc_u32_e32 v10, v6, v8
	v_subrev_co_ci_u32_e64 v10, s0, s21, v10, vcc_lo
	v_add_co_u32 v11, s0, v4, 2
	v_add_co_ci_u32_e64 v12, s0, 0, v9, s0
	v_sub_co_u32 v13, s0, v7, s20
	v_sub_co_ci_u32_e32 v8, vcc_lo, v6, v8, vcc_lo
	v_subrev_co_ci_u32_e64 v10, s0, 0, v10, s0
	v_cmp_le_u32_e32 vcc_lo, s20, v13
	v_cmp_eq_u32_e64 s0, s21, v8
	v_cndmask_b32_e64 v13, 0, -1, vcc_lo
	v_cmp_le_u32_e32 vcc_lo, s21, v10
	v_cndmask_b32_e64 v14, 0, -1, vcc_lo
	v_cmp_le_u32_e32 vcc_lo, s20, v7
	;; [unrolled: 2-line block ×3, first 2 shown]
	v_cndmask_b32_e64 v15, 0, -1, vcc_lo
	v_cmp_eq_u32_e32 vcc_lo, s21, v10
	v_cndmask_b32_e64 v7, v15, v7, s0
	v_cndmask_b32_e32 v10, v14, v13, vcc_lo
	v_add_co_u32 v13, vcc_lo, v4, 1
	v_add_co_ci_u32_e32 v14, vcc_lo, 0, v9, vcc_lo
	v_cmp_ne_u32_e32 vcc_lo, 0, v10
	v_cndmask_b32_e32 v8, v14, v12, vcc_lo
	v_cndmask_b32_e32 v10, v13, v11, vcc_lo
	v_cmp_ne_u32_e32 vcc_lo, 0, v7
	v_cndmask_b32_e32 v8, v9, v8, vcc_lo
	v_cndmask_b32_e32 v7, v4, v10, vcc_lo
.LBB0_4:                                ;   in Loop: Header=BB0_2 Depth=1
	s_andn2_saveexec_b32 s0, s1
	s_cbranch_execz .LBB0_6
; %bb.5:                                ;   in Loop: Header=BB0_2 Depth=1
	v_cvt_f32_u32_e32 v4, s20
	s_sub_i32 s1, 0, s20
	v_rcp_iflag_f32_e32 v4, v4
	v_mul_f32_e32 v4, 0x4f7ffffe, v4
	v_cvt_u32_f32_e32 v4, v4
	v_mul_lo_u32 v7, s1, v4
	v_mul_hi_u32 v7, v4, v7
	v_add_nc_u32_e32 v4, v4, v7
	v_mul_hi_u32 v4, v5, v4
	v_mul_lo_u32 v7, v4, s20
	v_add_nc_u32_e32 v8, 1, v4
	v_sub_nc_u32_e32 v7, v5, v7
	v_subrev_nc_u32_e32 v9, s20, v7
	v_cmp_le_u32_e32 vcc_lo, s20, v7
	v_cndmask_b32_e32 v7, v7, v9, vcc_lo
	v_cndmask_b32_e32 v4, v4, v8, vcc_lo
	v_cmp_le_u32_e32 vcc_lo, s20, v7
	v_add_nc_u32_e32 v8, 1, v4
	v_cndmask_b32_e32 v7, v4, v8, vcc_lo
	v_mov_b32_e32 v8, v3
.LBB0_6:                                ;   in Loop: Header=BB0_2 Depth=1
	s_or_b32 exec_lo, exec_lo, s0
	s_load_dwordx2 s[0:1], s[6:7], 0x0
	v_mul_lo_u32 v4, v8, s20
	v_mul_lo_u32 v11, v7, s21
	v_mad_u64_u32 v[9:10], null, v7, s20, 0
	s_add_u32 s18, s18, 1
	s_addc_u32 s19, s19, 0
	s_add_u32 s6, s6, 8
	s_addc_u32 s7, s7, 0
	;; [unrolled: 2-line block ×3, first 2 shown]
	v_add3_u32 v4, v10, v11, v4
	v_sub_co_u32 v5, vcc_lo, v5, v9
	v_sub_co_ci_u32_e32 v4, vcc_lo, v6, v4, vcc_lo
	s_waitcnt lgkmcnt(0)
	v_mul_lo_u32 v6, s1, v5
	v_mul_lo_u32 v4, s0, v4
	v_mad_u64_u32 v[1:2], null, s0, v5, v[1:2]
	v_cmp_ge_u64_e64 s0, s[18:19], s[10:11]
	s_and_b32 vcc_lo, exec_lo, s0
	v_add3_u32 v2, v6, v2, v4
	s_cbranch_vccnz .LBB0_9
; %bb.7:                                ;   in Loop: Header=BB0_2 Depth=1
	v_mov_b32_e32 v5, v7
	v_mov_b32_e32 v6, v8
	s_branch .LBB0_2
.LBB0_8:
	v_mov_b32_e32 v8, v6
	v_mov_b32_e32 v7, v5
.LBB0_9:
	s_lshl_b64 s[0:1], s[10:11], 3
	v_mul_hi_u32 v3, 0x10624de, v0
	s_add_u32 s0, s14, s0
	s_addc_u32 s1, s15, s1
	s_load_dwordx2 s[0:1], s[0:1], 0x0
	s_load_dwordx2 s[4:5], s[4:5], 0x20
	v_mul_u32_u24_e32 v3, 0xfa, v3
	v_sub_nc_u32_e32 v3, v0, v3
	s_waitcnt lgkmcnt(0)
	v_mul_lo_u32 v4, s0, v8
	v_mul_lo_u32 v5, s1, v7
	v_mad_u64_u32 v[1:2], null, s0, v7, v[1:2]
	v_cmp_gt_u64_e32 vcc_lo, s[4:5], v[7:8]
	v_cmp_le_u64_e64 s0, s[4:5], v[7:8]
                                        ; implicit-def: $vgpr8
	v_add3_u32 v2, v5, v2, v4
	v_add_nc_u32_e32 v4, 0xfa, v3
	s_and_saveexec_b32 s1, s0
	s_xor_b32 s0, exec_lo, s1
; %bb.10:
	v_add_nc_u32_e32 v8, 0xfa, v3
; %bb.11:
	s_or_saveexec_b32 s1, s0
	v_lshlrev_b64 v[0:1], 2, v[1:2]
	v_add_nc_u32_e32 v6, 0x1f4, v3
	v_add_nc_u32_e32 v7, 0x3e8, v3
	;; [unrolled: 1-line block ×4, first 2 shown]
                                        ; implicit-def: $vgpr18
                                        ; implicit-def: $vgpr23
                                        ; implicit-def: $vgpr19
                                        ; implicit-def: $vgpr20
                                        ; implicit-def: $vgpr21
                                        ; implicit-def: $vgpr17
                                        ; implicit-def: $vgpr22
                                        ; implicit-def: $vgpr16
                                        ; implicit-def: $vgpr10
                                        ; implicit-def: $vgpr12
                                        ; implicit-def: $vgpr11
                                        ; implicit-def: $vgpr13
                                        ; implicit-def: $vgpr14
                                        ; implicit-def: $vgpr15
                                        ; implicit-def: $vgpr9
	s_xor_b32 exec_lo, exec_lo, s1
	s_cbranch_execz .LBB0_13
; %bb.12:
	v_mad_u64_u32 v[8:9], null, s2, v3, 0
	v_mad_u64_u32 v[10:11], null, s2, v4, 0
	;; [unrolled: 1-line block ×3, first 2 shown]
	v_add_co_u32 v31, s0, s12, v0
	v_add_co_ci_u32_e64 v32, s0, s13, v1, s0
	v_mad_u64_u32 v[14:15], null, s3, v3, v[9:10]
	v_mov_b32_e32 v9, v13
	v_mad_u64_u32 v[15:16], null, s3, v4, v[11:12]
	v_add_nc_u32_e32 v22, 0x2ee, v3
	v_add_nc_u32_e32 v28, 0x4e2, v3
	v_mad_u64_u32 v[19:20], null, s3, v6, v[9:10]
	v_mov_b32_e32 v9, v14
	v_mad_u64_u32 v[17:18], null, s2, v22, 0
	v_mov_b32_e32 v11, v15
	v_mad_u64_u32 v[20:21], null, s2, v7, 0
	v_lshlrev_b64 v[8:9], 2, v[8:9]
	v_mov_b32_e32 v13, v19
	v_lshlrev_b64 v[10:11], 2, v[10:11]
	v_mov_b32_e32 v14, v18
	v_add_nc_u32_e32 v33, 0x6d6, v3
	v_add_nc_u32_e32 v34, 0x8ca, v3
	v_add_co_u32 v8, s0, v31, v8
	v_add_co_ci_u32_e64 v9, s0, v32, v9, s0
	v_lshlrev_b64 v[15:16], 2, v[12:13]
	global_load_dword v12, v[8:9], off
	v_add_co_u32 v8, s0, v31, v15
	v_add_co_ci_u32_e64 v9, s0, v32, v16, s0
	v_mad_u64_u32 v[13:14], null, s3, v22, v[14:15]
	v_mov_b32_e32 v14, v21
	global_load_dword v16, v[8:9], off
	v_add_co_u32 v24, s0, v31, v10
	v_add_co_ci_u32_e64 v25, s0, v32, v11, s0
	v_mov_b32_e32 v18, v13
	v_mad_u64_u32 v[10:11], null, s3, v7, v[14:15]
	v_mad_u64_u32 v[13:14], null, s2, v2, 0
	v_lshlrev_b64 v[8:9], 2, v[17:18]
	v_mad_u64_u32 v[18:19], null, s2, v28, 0
	v_mad_u64_u32 v[22:23], null, s2, v33, 0
	v_mov_b32_e32 v21, v10
	v_mov_b32_e32 v10, v14
	v_add_co_u32 v8, s0, v31, v8
	v_mov_b32_e32 v11, v19
	v_lshlrev_b64 v[14:15], 2, v[20:21]
	v_add_co_ci_u32_e64 v9, s0, v32, v9, s0
	v_mad_u64_u32 v[19:20], null, s3, v2, v[10:11]
	v_mad_u64_u32 v[20:21], null, s2, v5, 0
	v_add_co_u32 v26, s0, v31, v14
	v_add_co_ci_u32_e64 v27, s0, v32, v15, s0
	v_mov_b32_e32 v14, v19
	v_mov_b32_e32 v15, v23
	global_load_dword v17, v[26:27], off
	s_waitcnt vmcnt(2)
	v_mad_u64_u32 v[10:11], null, s3, v28, v[11:12]
	v_mov_b32_e32 v11, v21
	v_mad_u64_u32 v[28:29], null, s3, v5, v[11:12]
	v_mad_u64_u32 v[29:30], null, s2, v34, 0
	v_mov_b32_e32 v19, v10
	v_lshlrev_b64 v[10:11], 2, v[13:14]
	s_waitcnt vmcnt(1)
	v_mad_u64_u32 v[13:14], null, s3, v33, v[15:16]
	v_mov_b32_e32 v21, v28
	v_lshlrev_b64 v[14:15], 2, v[18:19]
	v_mov_b32_e32 v18, v30
	v_add_co_u32 v10, s0, v31, v10
	v_add_co_ci_u32_e64 v11, s0, v32, v11, s0
	v_mad_u64_u32 v[18:19], null, s3, v34, v[18:19]
	v_mov_b32_e32 v23, v13
	v_lshlrev_b64 v[26:27], 2, v[20:21]
	v_add_co_u32 v13, s0, v31, v14
	global_load_dword v20, v[10:11], off
	v_lshlrev_b64 v[10:11], 2, v[22:23]
	v_mov_b32_e32 v30, v18
	v_add_co_ci_u32_e64 v14, s0, v32, v15, s0
	v_add_co_u32 v18, s0, v31, v26
	v_lshlrev_b64 v[21:22], 2, v[29:30]
	v_add_co_ci_u32_e64 v19, s0, v32, v27, s0
	v_add_co_u32 v10, s0, v31, v10
	v_add_co_ci_u32_e64 v11, s0, v32, v11, s0
	global_load_dword v23, v[18:19], off
	v_add_co_u32 v18, s0, v31, v21
	v_add_co_ci_u32_e64 v19, s0, v32, v22, s0
	s_clause 0x4
	global_load_dword v11, v[10:11], off
	global_load_dword v14, v[13:14], off
	;; [unrolled: 1-line block ×5, first 2 shown]
	v_lshrrev_b32_e32 v10, 16, v12
	v_lshrrev_b32_e32 v22, 16, v16
	s_waitcnt vmcnt(7)
	v_lshrrev_b32_e32 v21, 16, v17
	v_mov_b32_e32 v8, v4
	s_waitcnt vmcnt(6)
	v_lshrrev_b32_e32 v19, 16, v20
	s_waitcnt vmcnt(5)
	v_lshrrev_b32_e32 v18, 16, v23
.LBB0_13:
	s_or_b32 exec_lo, exec_lo, s1
	v_add_f16_e32 v24, v20, v17
	v_sub_f16_e32 v26, v22, v18
	v_add_f16_e32 v25, v16, v12
	v_sub_f16_e32 v27, v21, v19
	v_sub_f16_e32 v28, v16, v17
	v_fma_f16 v24, -0.5, v24, v12
	v_sub_f16_e32 v29, v23, v20
	v_add_f16_e32 v30, v23, v16
	v_add_f16_e32 v25, v17, v25
	v_sub_f16_e32 v31, v17, v16
	v_fmamk_f16 v32, v26, 0x3b9c, v24
	v_fmac_f16_e32 v24, 0xbb9c, v26
	v_add_f16_e32 v28, v29, v28
	v_fmac_f16_e32 v12, -0.5, v30
	v_sub_f16_e32 v29, v20, v23
	v_fmac_f16_e32 v32, 0x38b4, v27
	v_fmac_f16_e32 v24, 0xb8b4, v27
	v_add_f16_e32 v33, v22, v10
	v_add_f16_e32 v34, v19, v21
	;; [unrolled: 1-line block ×3, first 2 shown]
	v_fmamk_f16 v30, v27, 0xbb9c, v12
	v_fmac_f16_e32 v32, 0x34f2, v28
	v_add_f16_e32 v29, v29, v31
	v_fmac_f16_e32 v12, 0x3b9c, v27
	v_add_f16_e32 v27, v21, v33
	v_fma_f16 v31, -0.5, v34, v10
	v_sub_f16_e32 v16, v16, v23
	v_fmac_f16_e32 v24, 0x34f2, v28
	v_add_f16_e32 v28, v18, v22
	v_add_f16_e32 v25, v23, v25
	v_fmac_f16_e32 v30, 0x38b4, v26
	v_fmac_f16_e32 v12, 0xb8b4, v26
	v_add_f16_e32 v23, v19, v27
	v_fmamk_f16 v26, v16, 0xbb9c, v31
	v_sub_f16_e32 v17, v17, v20
	v_sub_f16_e32 v20, v22, v21
	;; [unrolled: 1-line block ×3, first 2 shown]
	v_fmac_f16_e32 v31, 0x3b9c, v16
	v_fmac_f16_e32 v10, -0.5, v28
	v_add_f16_e32 v23, v18, v23
	v_fmac_f16_e32 v26, 0xb8b4, v17
	v_add_f16_e32 v20, v27, v20
	v_sub_f16_e32 v18, v19, v18
	v_fmac_f16_e32 v31, 0x38b4, v17
	v_fmamk_f16 v19, v17, 0x3b9c, v10
	v_fmac_f16_e32 v10, 0xbb9c, v17
	v_sub_f16_e32 v21, v21, v22
	v_fmac_f16_e32 v26, 0x34f2, v20
	s_waitcnt vmcnt(1)
	v_add_f16_e32 v22, v15, v9
	v_fmac_f16_e32 v31, 0x34f2, v20
	v_fmac_f16_e32 v19, 0xb8b4, v16
	;; [unrolled: 1-line block ×3, first 2 shown]
	v_pk_add_f16 v16, v15, v14 neg_lo:[0,1] neg_hi:[0,1]
	s_waitcnt vmcnt(0)
	v_pk_add_f16 v20, v13, v11 neg_lo:[0,1] neg_hi:[0,1]
	v_add_f16_e32 v18, v18, v21
	v_add_f16_e32 v17, v14, v22
	;; [unrolled: 1-line block ×3, first 2 shown]
	v_pk_add_f16 v22, v15, v13 neg_lo:[0,1] neg_hi:[0,1]
	v_pk_add_f16 v27, v14, v11 neg_lo:[0,1] neg_hi:[0,1]
	v_pk_add_f16 v16, v20, v16
	v_fmac_f16_e32 v30, 0x34f2, v29
	v_fmac_f16_e32 v12, 0x34f2, v29
	v_lshrrev_b32_e32 v20, 16, v9
	v_add_f16_sdwa v28, v11, v14 dst_sel:DWORD dst_unused:UNUSED_PAD src0_sel:WORD_1 src1_sel:WORD_1
	v_fma_f16 v21, -0.5, v21, v9
	v_lshrrev_b32_e32 v29, 16, v22
	v_bfi_b32 v16, 0xffff, v16, v27
	v_add_f16_sdwa v33, v15, v20 dst_sel:DWORD dst_unused:UNUSED_PAD src0_sel:WORD_1 src1_sel:DWORD
	v_fmac_f16_e32 v20, -0.5, v28
	v_sub_f16_sdwa v34, v15, v14 dst_sel:DWORD dst_unused:UNUSED_PAD src0_sel:WORD_1 src1_sel:WORD_1
	v_fmamk_f16 v28, v29, 0x3b9c, v21
	v_pk_mul_f16 v16, 0x38b434f2, v16
	v_fmac_f16_e32 v21, 0xbb9c, v29
	v_fmamk_f16 v29, v22, 0xbb9c, v20
	v_sub_f16_sdwa v35, v13, v11 dst_sel:DWORD dst_unused:UNUSED_PAD src0_sel:WORD_1 src1_sel:WORD_1
	v_fmac_f16_e32 v20, 0x3b9c, v22
	v_add_f16_sdwa v28, v16, v28 dst_sel:DWORD dst_unused:UNUSED_PAD src0_sel:WORD_1 src1_sel:DWORD
	v_sub_f16_sdwa v21, v21, v16 dst_sel:DWORD dst_unused:UNUSED_PAD src0_sel:DWORD src1_sel:WORD_1
	v_fmac_f16_e32 v29, 0xb8b4, v27
	v_add_f16_e32 v34, v35, v34
	v_pk_add_f16 v35, v13, v15
	v_add_f16_e32 v28, v16, v28
	v_fmac_f16_e32 v20, 0x38b4, v27
	v_add_f16_e32 v16, v16, v21
	v_add_f16_sdwa v21, v14, v33 dst_sel:DWORD dst_unused:UNUSED_PAD src0_sel:WORD_1 src1_sel:DWORD
	v_fmac_f16_e32 v29, 0x34f2, v34
	v_mul_f16_e32 v33, 0x3a79, v28
	v_mul_f16_e32 v28, 0xb8b4, v28
	v_pk_fma_f16 v9, v35, -0.5, v9 op_sel_hi:[1,0,1]
	v_pk_mul_f16 v27, 0x3b9c, v27 op_sel_hi:[0,1]
	v_add_f16_e32 v17, v11, v17
	v_add_f16_sdwa v21, v11, v21 dst_sel:DWORD dst_unused:UNUSED_PAD src0_sel:WORD_1 src1_sel:DWORD
	v_pk_add_f16 v14, v14, v15 neg_lo:[0,1] neg_hi:[0,1]
	v_fmac_f16_e32 v33, 0x38b4, v29
	v_pk_add_f16 v11, v11, v13 neg_lo:[0,1] neg_hi:[0,1]
	v_fmac_f16_e32 v28, 0x3a79, v29
	v_pk_mul_f16 v22, 0x38b4, v22 op_sel_hi:[0,1]
	v_pk_add_f16 v29, v9, v27 op_sel:[0,1] op_sel_hi:[1,0] neg_lo:[0,1] neg_hi:[0,1]
	v_pk_add_f16 v9, v27, v9 op_sel:[1,0] op_sel_hi:[0,1]
	v_add_f16_e32 v17, v13, v17
	v_fmac_f16_e32 v20, 0x34f2, v34
	v_mul_f16_e32 v34, 0x3a79, v16
	v_pk_add_f16 v11, v11, v14
	v_pk_add_f16 v14, v22, v29 op_sel:[1,0] op_sel_hi:[0,1]
	v_pk_add_f16 v9, v9, v22 op_sel:[0,1] op_sel_hi:[1,0] neg_lo:[0,1] neg_hi:[0,1]
	v_add_f16_sdwa v13, v13, v21 dst_sel:DWORD dst_unused:UNUSED_PAD src0_sel:WORD_1 src1_sel:DWORD
	v_fma_f16 v15, v20, 0x38b4, -v34
	v_add_f16_e32 v21, v17, v25
	v_sub_f16_e32 v17, v25, v17
	v_mul_u32_u24_e32 v25, 10, v3
	v_pk_fma_f16 v14, 0x34f2, v11, v14 op_sel_hi:[0,1,1]
	v_pk_fma_f16 v27, 0x34f2, v11, v9 op_sel_hi:[0,1,1]
	v_add_f16_e32 v34, v32, v33
	v_add_f16_e32 v36, v24, v15
	v_mul_f16_e32 v20, 0x3a79, v20
	v_sub_f16_e32 v29, v32, v33
	v_sub_f16_e32 v15, v24, v15
	v_lshl_add_u32 v9, v25, 1, 0
	v_mul_f16_e32 v24, 0x34f2, v14
	v_lshrrev_b32_e32 v25, 16, v27
	v_mul_f16_e32 v32, 0x34f2, v27
	v_lshrrev_b32_e32 v33, 16, v14
	v_add_f16_e32 v35, v13, v23
	v_fma_f16 v16, v16, 0xb8b4, -v20
	v_sub_f16_e32 v23, v23, v13
	v_fmac_f16_e32 v24, 0x3b9c, v25
	v_fma_f16 v13, v33, 0x3b9c, -v32
	v_mul_f16_e32 v18, 0x34f2, v18
	v_pack_b32_f16 v19, v10, v19
	v_add_f16_e32 v22, v31, v16
	v_sub_f16_e32 v16, v31, v16
	v_add_f16_e32 v25, v30, v24
	v_add_f16_e32 v31, v12, v13
	v_pk_add_f16 v18, v18, v19 op_sel_hi:[0,1]
	v_sub_f16_e32 v19, v30, v24
	v_sub_f16_e32 v12, v12, v13
	v_pk_mul_f16 v14, 0x34f23b9c, v14
	v_pack_b32_f16 v13, v25, v31
	v_pack_b32_f16 v21, v21, v34
	;; [unrolled: 1-line block ×4, first 2 shown]
	v_and_b32_e32 v32, 0xff, v3
	v_pack_b32_f16 v12, v12, v15
	v_pk_fma_f16 v14, 0x34f2bb9c, v27, v14 op_sel:[0,0,1] op_sel_hi:[1,1,0] neg_lo:[0,0,1] neg_hi:[0,0,1]
	ds_write2_b32 v9, v21, v13 offset1:1
	ds_write2_b32 v9, v17, v19 offset0:2 offset1:3
	ds_write_b32 v9, v12 offset:16
	v_mov_b32_e32 v19, 0xcccd
	v_mul_lo_u16 v17, 0xcd, v32
	v_add_f16_e32 v20, v26, v28
	v_pk_add_f16 v15, v18, v14
	v_sub_f16_e32 v24, v18, v14
	v_mul_u32_u24_sdwa v19, v8, v19 dst_sel:DWORD dst_unused:UNUSED_PAD src0_sel:WORD_0 src1_sel:DWORD
	v_bfi_b32 v18, 0xffff, v26, v18
	v_lshrrev_b16 v26, 11, v17
	v_bfi_b32 v14, 0xffff, v28, v14
	v_mad_i32_i24 v11, 0xffffffee, v3, v9
	v_alignbit_b32 v15, v15, v15, 16
	v_pack_b32_f16 v17, v35, v20
	v_pack_b32_f16 v16, v24, v16
	v_lshrrev_b32_e32 v24, 19, v19
	v_mul_lo_u16 v20, v26, 10
	v_pk_add_f16 v14, v18, v14 neg_lo:[0,1] neg_hi:[0,1]
	v_pack_b32_f16 v18, v22, v23
	v_lshl_add_u32 v10, v8, 1, 0
	s_waitcnt lgkmcnt(0)
	s_barrier
	buffer_gl0_inv
	ds_read_u16 v25, v11 offset:3500
	ds_read_u16 v27, v11 offset:3000
	;; [unrolled: 1-line block ×6, first 2 shown]
	ds_read_u16 v13, v11
	ds_read_u16 v12, v10
	ds_read_u16 v34, v11 offset:4000
	ds_read_u16 v36, v11 offset:4500
	s_waitcnt lgkmcnt(0)
	s_barrier
	buffer_gl0_inv
	ds_write2_b32 v9, v17, v15 offset1:1
	ds_write2_b32 v9, v18, v14 offset0:2 offset1:3
	v_mul_lo_u16 v14, v24, 10
	v_sub_nc_u16 v28, v3, v20
	v_mov_b32_e32 v20, 4
	ds_write_b32 v9, v16 offset:16
	s_waitcnt lgkmcnt(0)
	v_sub_nc_u16 v35, v8, v14
	s_barrier
	v_lshlrev_b32_sdwa v15, v20, v28 dst_sel:DWORD dst_unused:UNUSED_PAD src0_sel:DWORD src1_sel:BYTE_0
	buffer_gl0_inv
	v_mov_b32_e32 v38, 9
	v_lshlrev_b32_sdwa v14, v20, v35 dst_sel:DWORD dst_unused:UNUSED_PAD src0_sel:DWORD src1_sel:WORD_0
	ds_read_u16 v39, v11 offset:2000
	global_load_dwordx4 v[16:19], v15, s[8:9]
	v_mul_u32_u24_e32 v24, 0x64, v24
	global_load_dwordx4 v[20:23], v14, s[8:9]
	v_mul_lo_u16 v14, v32, 41
	v_mov_b32_e32 v32, 0x64
	v_mov_b32_e32 v15, 1
	v_lshrrev_b16 v14, 11, v14
	v_mul_u32_u24_sdwa v26, v26, v32 dst_sel:DWORD dst_unused:UNUSED_PAD src0_sel:WORD_0 src1_sel:DWORD
	v_lshlrev_b32_sdwa v28, v15, v28 dst_sel:DWORD dst_unused:UNUSED_PAD src0_sel:DWORD src1_sel:BYTE_0
	v_lshlrev_b32_sdwa v35, v15, v35 dst_sel:DWORD dst_unused:UNUSED_PAD src0_sel:DWORD src1_sel:WORD_0
	v_mul_lo_u16 v37, v14, 50
	v_add3_u32 v26, 0, v26, v28
	v_add3_u32 v24, 0, v24, v35
	v_sub_nc_u16 v32, v3, v37
	ds_read_u16 v37, v11 offset:1000
	ds_read_u16 v40, v11 offset:3000
	;; [unrolled: 1-line block ×6, first 2 shown]
	v_mul_u32_u24_sdwa v38, v32, v38 dst_sel:DWORD dst_unused:UNUSED_PAD src0_sel:BYTE_0 src1_sel:DWORD
	v_lshlrev_b32_sdwa v15, v15, v32 dst_sel:DWORD dst_unused:UNUSED_PAD src0_sel:DWORD src1_sel:BYTE_0
	v_lshlrev_b32_e32 v28, 2, v38
	ds_read_u16 v35, v11 offset:4500
	ds_read_u16 v38, v11
	ds_read_u16 v45, v10
	s_waitcnt vmcnt(0) lgkmcnt(0)
	s_barrier
	buffer_gl0_inv
	v_mul_f16_sdwa v46, v37, v16 dst_sel:DWORD dst_unused:UNUSED_PAD src0_sel:DWORD src1_sel:WORD_1
	v_mul_f16_sdwa v47, v33, v16 dst_sel:DWORD dst_unused:UNUSED_PAD src0_sel:DWORD src1_sel:WORD_1
	;; [unrolled: 1-line block ×16, first 2 shown]
	v_fma_f16 v33, v33, v16, -v46
	v_fmac_f16_e32 v47, v37, v16
	v_fma_f16 v16, v30, v17, -v48
	v_fmac_f16_e32 v49, v39, v17
	;; [unrolled: 2-line block ×8, first 2 shown]
	v_sub_f16_e32 v30, v33, v16
	v_sub_f16_e32 v31, v18, v17
	v_add_f16_e32 v23, v13, v33
	v_add_f16_e32 v25, v16, v17
	;; [unrolled: 1-line block ×5, first 2 shown]
	v_sub_f16_e32 v27, v47, v53
	v_sub_f16_e32 v35, v16, v33
	;; [unrolled: 1-line block ×3, first 2 shown]
	v_add_f16_e32 v37, v38, v47
	v_sub_f16_e32 v41, v47, v49
	v_sub_f16_e32 v44, v49, v47
	v_add_f16_e32 v47, v12, v19
	v_add_f16_e32 v48, v20, v21
	;; [unrolled: 1-line block ×6, first 2 shown]
	v_sub_f16_e32 v33, v33, v18
	v_sub_f16_e32 v40, v16, v17
	v_add_f16_e32 v16, v23, v16
	v_fma_f16 v25, -0.5, v25, v13
	v_fma_f16 v39, -0.5, v39, v38
	v_sub_f16_e32 v29, v49, v51
	v_sub_f16_e32 v50, v55, v61
	v_add_f16_e32 v63, v45, v55
	v_sub_f16_e32 v66, v55, v57
	v_sub_f16_e32 v55, v57, v55
	v_fmac_f16_e32 v13, -0.5, v34
	v_sub_f16_e32 v34, v59, v61
	v_fmac_f16_e32 v38, -0.5, v43
	v_sub_f16_e32 v42, v53, v51
	v_sub_f16_e32 v46, v51, v53
	;; [unrolled: 1-line block ×6, first 2 shown]
	v_add_f16_e32 v35, v35, v36
	v_add_f16_e32 v36, v37, v49
	;; [unrolled: 1-line block ×3, first 2 shown]
	v_fma_f16 v43, -0.5, v48, v12
	v_fmac_f16_e32 v12, -0.5, v58
	v_sub_f16_e32 v56, v22, v21
	v_sub_f16_e32 v19, v19, v22
	v_fma_f16 v47, -0.5, v64, v45
	v_fmac_f16_e32 v45, -0.5, v31
	v_add_f16_e32 v16, v16, v17
	v_fmamk_f16 v17, v27, 0x3b9c, v25
	v_fmamk_f16 v48, v33, 0xbb9c, v39
	v_add_f16_e32 v31, v55, v34
	v_fmamk_f16 v34, v29, 0xbb9c, v13
	v_fmamk_f16 v49, v40, 0x3b9c, v38
	v_fmac_f16_e32 v13, 0x3b9c, v29
	v_fmac_f16_e32 v38, 0xbb9c, v40
	v_sub_f16_e32 v62, v21, v22
	v_add_f16_e32 v37, v41, v42
	v_add_f16_e32 v41, v44, v46
	v_add_f16_e32 v46, v63, v57
	v_fmac_f16_e32 v25, 0xbb9c, v27
	v_add_f16_e32 v36, v36, v51
	v_fmac_f16_e32 v39, 0x3b9c, v33
	v_add_f16_e32 v20, v20, v21
	v_fmamk_f16 v21, v50, 0x3b9c, v43
	v_fmamk_f16 v51, v52, 0xbb9c, v12
	v_fmac_f16_e32 v12, 0x3b9c, v52
	v_sub_f16_e32 v23, v61, v59
	v_add_f16_e32 v42, v54, v56
	v_fmac_f16_e32 v43, 0xbb9c, v50
	v_fmamk_f16 v54, v19, 0xbb9c, v47
	v_fmac_f16_e32 v47, 0x3b9c, v19
	v_fmamk_f16 v55, v65, 0x3b9c, v45
	v_fmac_f16_e32 v45, 0xbb9c, v65
	v_fmac_f16_e32 v17, 0x38b4, v29
	;; [unrolled: 1-line block ×7, first 2 shown]
	v_add_f16_e32 v44, v60, v62
	v_add_f16_e32 v46, v46, v59
	v_fmac_f16_e32 v25, 0xb8b4, v29
	v_fmac_f16_e32 v39, 0x38b4, v40
	;; [unrolled: 1-line block ×4, first 2 shown]
	v_add_f16_e32 v23, v66, v23
	v_add_f16_e32 v16, v16, v18
	;; [unrolled: 1-line block ×3, first 2 shown]
	v_fmac_f16_e32 v43, 0xb8b4, v52
	v_fmac_f16_e32 v51, 0x38b4, v50
	v_fmac_f16_e32 v54, 0xb8b4, v65
	v_fmac_f16_e32 v47, 0x38b4, v65
	v_fmac_f16_e32 v55, 0xb8b4, v19
	v_fmac_f16_e32 v45, 0x38b4, v19
	v_fmac_f16_e32 v17, 0x34f2, v30
	v_fmac_f16_e32 v48, 0x34f2, v37
	v_fmac_f16_e32 v34, 0x34f2, v35
	v_fmac_f16_e32 v49, 0x34f2, v41
	v_fmac_f16_e32 v13, 0x34f2, v35
	v_fmac_f16_e32 v38, 0x34f2, v41
	v_add_f16_e32 v20, v20, v22
	v_add_f16_e32 v22, v46, v61
	v_fmac_f16_e32 v25, 0x34f2, v30
	v_fmac_f16_e32 v39, 0x34f2, v37
	;; [unrolled: 1-line block ×10, first 2 shown]
	ds_write_b16 v26, v16
	ds_write_b16 v26, v17 offset:20
	ds_write_b16 v26, v34 offset:40
	;; [unrolled: 1-line block ×4, first 2 shown]
	ds_write_b16 v24, v20
	ds_write_b16 v24, v21 offset:20
	ds_write_b16 v24, v51 offset:40
	;; [unrolled: 1-line block ×4, first 2 shown]
	s_waitcnt lgkmcnt(0)
	s_barrier
	buffer_gl0_inv
	ds_read_u16 v12, v11 offset:1500
	ds_read_u16 v13, v11 offset:2000
	ds_read_u16 v25, v11 offset:2500
	ds_read_u16 v27, v11 offset:3000
	ds_read_u16 v29, v11 offset:3500
	ds_read_u16 v30, v11 offset:1000
	ds_read_u16 v31, v11
	ds_read_u16 v33, v10
	ds_read_u16 v34, v11 offset:4000
	ds_read_u16 v35, v11 offset:4500
	s_waitcnt lgkmcnt(0)
	s_barrier
	buffer_gl0_inv
	ds_write_b16 v26, v18
	ds_write_b16 v26, v48 offset:20
	ds_write_b16 v26, v49 offset:40
	;; [unrolled: 1-line block ×4, first 2 shown]
	ds_write_b16 v24, v22
	ds_write_b16 v24, v54 offset:20
	ds_write_b16 v24, v55 offset:40
	;; [unrolled: 1-line block ×4, first 2 shown]
	s_waitcnt lgkmcnt(0)
	s_barrier
	buffer_gl0_inv
	s_clause 0x2
	global_load_dwordx4 v[16:19], v28, s[8:9] offset:160
	global_load_dwordx4 v[20:23], v28, s[8:9] offset:176
	global_load_dword v24, v28, s[8:9] offset:192
	v_mov_b32_e32 v26, 0x3e8
	ds_read_u16 v28, v10
	ds_read_u16 v36, v11 offset:1000
	ds_read_u16 v37, v11 offset:1500
	v_mul_u32_u24_sdwa v14, v14, v26 dst_sel:DWORD dst_unused:UNUSED_PAD src0_sel:WORD_0 src1_sel:DWORD
	ds_read_u16 v26, v11 offset:2000
	ds_read_u16 v32, v11 offset:2500
	;; [unrolled: 1-line block ×4, first 2 shown]
	v_add3_u32 v40, 0, v14, v15
	ds_read_u16 v14, v11 offset:4000
	ds_read_u16 v41, v11
	ds_read_u16 v15, v11 offset:4500
	s_waitcnt vmcnt(0) lgkmcnt(0)
	s_barrier
	buffer_gl0_inv
	v_mul_f16_sdwa v42, v28, v16 dst_sel:DWORD dst_unused:UNUSED_PAD src0_sel:DWORD src1_sel:WORD_1
	v_mul_f16_sdwa v43, v33, v16 dst_sel:DWORD dst_unused:UNUSED_PAD src0_sel:DWORD src1_sel:WORD_1
	;; [unrolled: 1-line block ×18, first 2 shown]
	v_fma_f16 v33, v33, v16, -v42
	v_fmac_f16_e32 v43, v28, v16
	v_fma_f16 v16, v30, v17, -v44
	v_fmac_f16_e32 v45, v36, v17
	;; [unrolled: 2-line block ×6, first 2 shown]
	v_fmac_f16_e32 v55, v39, v22
	v_fma_f16 v20, v34, v23, -v56
	v_fmac_f16_e32 v57, v14, v23
	v_fmac_f16_e32 v59, v15, v24
	v_fma_f16 v19, v29, v22, -v54
	v_fma_f16 v14, v35, v24, -v58
	v_add_f16_e32 v21, v13, v18
	v_add_f16_e32 v26, v16, v20
	;; [unrolled: 1-line block ×7, first 2 shown]
	v_sub_f16_e32 v24, v16, v13
	v_sub_f16_e32 v25, v20, v18
	v_add_f16_e32 v29, v41, v45
	v_add_f16_e32 v42, v17, v19
	;; [unrolled: 1-line block ×4, first 2 shown]
	v_sub_f16_e32 v46, v12, v17
	v_sub_f16_e32 v48, v14, v19
	;; [unrolled: 1-line block ×4, first 2 shown]
	v_fma_f16 v21, -0.5, v21, v31
	v_fmac_f16_e32 v31, -0.5, v26
	v_fma_f16 v26, -0.5, v30, v41
	v_fmac_f16_e32 v41, -0.5, v36
	v_fma_f16 v36, -0.5, v58, v43
	v_add_f16_e32 v56, v43, v47
	v_sub_f16_e32 v60, v17, v19
	v_fmac_f16_e32 v43, -0.5, v63
	v_sub_f16_e32 v22, v45, v57
	v_sub_f16_e32 v27, v13, v16
	;; [unrolled: 1-line block ×13, first 2 shown]
	v_add_f16_e32 v13, v15, v13
	v_add_f16_e32 v15, v24, v25
	;; [unrolled: 1-line block ×3, first 2 shown]
	v_fma_f16 v29, -0.5, v42, v33
	v_fmac_f16_e32 v33, -0.5, v50
	v_add_f16_e32 v17, v39, v17
	v_sub_f16_e32 v62, v59, v55
	v_add_f16_e32 v30, v46, v48
	v_fmamk_f16 v48, v12, 0xbb9c, v36
	v_sub_f16_e32 v23, v49, v53
	v_fmamk_f16 v49, v60, 0x3b9c, v43
	v_sub_f16_e32 v54, v19, v14
	v_add_f16_e32 v24, v27, v28
	v_add_f16_e32 v27, v34, v35
	;; [unrolled: 1-line block ×5, first 2 shown]
	v_fmamk_f16 v47, v45, 0xbb9c, v33
	v_fmac_f16_e32 v33, 0x3b9c, v45
	v_add_f16_e32 v17, v17, v19
	v_fmamk_f16 v19, v44, 0x3b9c, v29
	v_fmac_f16_e32 v29, 0xbb9c, v44
	v_add_f16_e32 v37, v61, v62
	v_add_f16_e32 v13, v13, v18
	v_fmac_f16_e32 v48, 0xb8b4, v60
	v_fmamk_f16 v18, v22, 0x3b9c, v21
	v_fmac_f16_e32 v21, 0xbb9c, v22
	v_fmac_f16_e32 v49, 0xb8b4, v12
	v_sub_f16_e32 v16, v16, v20
	v_add_f16_e32 v34, v52, v54
	v_add_f16_e32 v25, v25, v53
	v_fmamk_f16 v46, v32, 0x3b9c, v41
	v_fmac_f16_e32 v41, 0xbb9c, v32
	v_add_f16_e32 v35, v35, v55
	v_fmac_f16_e32 v43, 0xbb9c, v60
	v_fmac_f16_e32 v33, 0xb8b4, v44
	;; [unrolled: 1-line block ×4, first 2 shown]
	v_add_f16_e32 v13, v13, v20
	v_add_f16_e32 v14, v17, v14
	v_fmac_f16_e32 v19, 0x38b4, v45
	v_fmac_f16_e32 v48, 0x34f2, v37
	v_fmamk_f16 v39, v23, 0xbb9c, v31
	v_fmac_f16_e32 v18, 0x38b4, v23
	v_fmac_f16_e32 v21, 0xb8b4, v23
	;; [unrolled: 1-line block ×5, first 2 shown]
	v_fmamk_f16 v42, v16, 0xbb9c, v26
	v_fmac_f16_e32 v26, 0x3b9c, v16
	v_add_f16_e32 v20, v25, v57
	v_fmac_f16_e32 v46, 0xb8b4, v16
	v_fmac_f16_e32 v41, 0x38b4, v16
	v_add_f16_e32 v16, v35, v59
	v_fmac_f16_e32 v43, 0x38b4, v12
	v_fmac_f16_e32 v33, 0x34f2, v34
	;; [unrolled: 1-line block ×5, first 2 shown]
	v_add_f16_e32 v12, v13, v14
	v_sub_f16_e32 v13, v13, v14
	v_mul_f16_e32 v14, 0x38b4, v48
	v_fmac_f16_e32 v39, 0x38b4, v22
	v_fmac_f16_e32 v18, 0x34f2, v15
	;; [unrolled: 1-line block ×4, first 2 shown]
	v_mul_f16_e32 v15, 0x3b9c, v49
	v_fmac_f16_e32 v31, 0xb8b4, v22
	v_fmac_f16_e32 v43, 0x34f2, v38
	v_add_f16_e32 v22, v20, v16
	v_sub_f16_e32 v23, v20, v16
	v_mul_f16_e32 v16, 0x34f2, v33
	v_fmac_f16_e32 v36, 0x34f2, v37
	v_mul_f16_e32 v17, 0x3a79, v29
	v_fmac_f16_e32 v42, 0xb8b4, v32
	v_fmac_f16_e32 v26, 0x38b4, v32
	v_mul_f16_e32 v20, 0xb8b4, v19
	v_fmac_f16_e32 v14, 0x3a79, v19
	v_fmac_f16_e32 v39, 0x34f2, v24
	;; [unrolled: 1-line block ×4, first 2 shown]
	ds_write_b16 v40, v12
	ds_write_b16 v40, v13 offset:500
	v_fma_f16 v12, v43, 0x3b9c, -v16
	v_fma_f16 v13, v36, 0x38b4, -v17
	v_fmac_f16_e32 v42, 0x34f2, v27
	v_fmac_f16_e32 v26, 0x34f2, v27
	v_mul_f16_e32 v27, 0x3a79, v36
	v_fmac_f16_e32 v20, 0x3a79, v48
	v_add_f16_e32 v16, v18, v14
	v_add_f16_e32 v17, v39, v15
	;; [unrolled: 1-line block ×3, first 2 shown]
	v_fmac_f16_e32 v46, 0x34f2, v28
	v_fmac_f16_e32 v41, 0x34f2, v28
	v_add_f16_e32 v28, v21, v13
	v_sub_f16_e32 v14, v18, v14
	v_sub_f16_e32 v15, v39, v15
	;; [unrolled: 1-line block ×4, first 2 shown]
	v_fma_f16 v27, v29, 0xb8b4, -v27
	v_add_f16_e32 v29, v42, v20
	v_sub_f16_e32 v21, v42, v20
	ds_write_b16 v40, v16 offset:100
	ds_write_b16 v40, v17 offset:200
	;; [unrolled: 1-line block ×8, first 2 shown]
	s_waitcnt lgkmcnt(0)
	s_barrier
	buffer_gl0_inv
	ds_read_u16 v18, v11 offset:3500
	ds_read_u16 v14, v11 offset:3000
	;; [unrolled: 1-line block ×6, first 2 shown]
	ds_read_u16 v12, v11
	ds_read_u16 v13, v10
	ds_read_u16 v17, v11 offset:4000
	ds_read_u16 v11, v11 offset:4500
	v_mul_f16_e32 v24, 0xbb9c, v47
	v_mul_f16_e32 v25, 0x34f2, v43
	s_waitcnt lgkmcnt(0)
	s_barrier
	buffer_gl0_inv
	v_fmac_f16_e32 v24, 0x34f2, v49
	v_fma_f16 v25, v33, 0xbb9c, -v25
	v_add_f16_e32 v33, v26, v27
	v_sub_f16_e32 v26, v26, v27
	v_add_f16_e32 v30, v46, v24
	v_add_f16_e32 v32, v41, v25
	v_sub_f16_e32 v24, v46, v24
	v_sub_f16_e32 v25, v41, v25
	ds_write_b16 v40, v22
	ds_write_b16 v40, v29 offset:100
	ds_write_b16 v40, v30 offset:200
	;; [unrolled: 1-line block ×9, first 2 shown]
	s_waitcnt lgkmcnt(0)
	s_barrier
	buffer_gl0_inv
	s_and_saveexec_b32 s0, vcc_lo
	s_cbranch_execz .LBB0_15
; %bb.14:
	v_lshlrev_b32_e32 v25, 2, v8
	v_mov_b32_e32 v26, 0
	v_mad_u64_u32 v[29:30], null, s2, v3, 0
	v_mad_u64_u32 v[31:32], null, s2, v6, 0
	v_lshlrev_b64 v[21:22], 2, v[25:26]
	v_lshlrev_b32_e32 v25, 2, v3
	v_mul_hi_u32 v39, 0x10624dd3, v4
	v_mad_u64_u32 v[33:34], null, s2, v7, 0
	v_mad_u64_u32 v[35:36], null, s2, v2, 0
	v_lshlrev_b64 v[25:26], 2, v[25:26]
	v_add_co_u32 v21, vcc_lo, s8, v21
	v_add_co_ci_u32_e32 v22, vcc_lo, s9, v22, vcc_lo
	v_mad_u64_u32 v[37:38], null, s2, v5, 0
	v_add_co_u32 v25, vcc_lo, s8, v25
	global_load_dwordx4 v[21:24], v[21:22], off offset:1960
	v_add_co_ci_u32_e32 v26, vcc_lo, s9, v26, vcc_lo
	v_mul_i32_i24_e32 v8, 0xffffffee, v3
	v_add_co_u32 v46, vcc_lo, s12, v0
	global_load_dwordx4 v[25:28], v[25:26], off offset:1960
	v_add_co_ci_u32_e32 v47, vcc_lo, s13, v1, vcc_lo
	v_mov_b32_e32 v0, v30
	v_mov_b32_e32 v1, v32
	v_lshrrev_b32_e32 v30, 5, v39
	v_add_nc_u32_e32 v40, v9, v8
	v_mov_b32_e32 v8, v34
	v_mov_b32_e32 v9, v36
	ds_read_u16 v45, v10
	v_mov_b32_e32 v10, v38
	v_mad_u64_u32 v[38:39], null, s3, v3, v[0:1]
	v_mad_u32_u24 v39, 0x7d0, v30, v4
	v_mad_u64_u32 v[0:1], null, s3, v6, v[1:2]
	v_mad_u64_u32 v[6:7], null, s3, v7, v[8:9]
	;; [unrolled: 1-line block ×5, first 2 shown]
	v_add_nc_u32_e32 v42, 0x3e8, v39
	v_add_nc_u32_e32 v41, 0x1f4, v39
	;; [unrolled: 1-line block ×3, first 2 shown]
	v_mov_b32_e32 v34, v6
	v_mov_b32_e32 v30, v38
	v_mad_u64_u32 v[5:6], null, s2, v42, 0
	v_mov_b32_e32 v38, v2
	v_mov_b32_e32 v2, v4
	v_add_nc_u32_e32 v44, 0x7d0, v39
	v_mov_b32_e32 v32, v0
	v_mov_b32_e32 v36, v1
	v_mad_u64_u32 v[0:1], null, s2, v41, 0
	v_mad_u64_u32 v[7:8], null, s2, v43, 0
	ds_read_u16 v48, v40 offset:4500
	ds_read_u16 v49, v40 offset:4000
	;; [unrolled: 1-line block ×8, first 2 shown]
	ds_read_u16 v56, v40
	v_lshlrev_b64 v[29:30], 2, v[29:30]
	v_mad_u64_u32 v[39:40], null, s3, v39, v[2:3]
	v_mov_b32_e32 v2, v6
	v_mad_u64_u32 v[9:10], null, s2, v44, 0
	v_lshlrev_b64 v[31:32], 2, v[31:32]
	v_mov_b32_e32 v4, v8
	v_mad_u64_u32 v[40:41], null, s3, v41, v[1:2]
	v_lshlrev_b64 v[33:34], 2, v[33:34]
	v_add_co_u32 v29, vcc_lo, v46, v29
	v_add_co_ci_u32_e32 v30, vcc_lo, v47, v30, vcc_lo
	v_mad_u64_u32 v[41:42], null, s3, v42, v[2:3]
	v_lshlrev_b64 v[35:36], 2, v[35:36]
	v_mov_b32_e32 v6, v10
	v_add_co_u32 v31, vcc_lo, v46, v31
	v_mad_u64_u32 v[42:43], null, s3, v43, v[4:5]
	v_mov_b32_e32 v4, v39
	v_add_co_ci_u32_e32 v32, vcc_lo, v47, v32, vcc_lo
	v_lshlrev_b64 v[37:38], 2, v[37:38]
	v_add_co_u32 v33, vcc_lo, v46, v33
	v_mov_b32_e32 v1, v40
	v_add_co_ci_u32_e32 v34, vcc_lo, v47, v34, vcc_lo
	v_mad_u64_u32 v[43:44], null, s3, v44, v[6:7]
	v_add_co_u32 v35, vcc_lo, v46, v35
	v_lshlrev_b64 v[2:3], 2, v[3:4]
	v_mov_b32_e32 v6, v41
	v_add_co_ci_u32_e32 v36, vcc_lo, v47, v36, vcc_lo
	v_add_co_u32 v37, vcc_lo, v46, v37
	v_lshlrev_b64 v[0:1], 2, v[0:1]
	v_mov_b32_e32 v8, v42
	v_add_co_ci_u32_e32 v38, vcc_lo, v47, v38, vcc_lo
	v_lshlrev_b64 v[4:5], 2, v[5:6]
	v_add_co_u32 v2, vcc_lo, v46, v2
	v_mov_b32_e32 v10, v43
	v_add_co_ci_u32_e32 v3, vcc_lo, v47, v3, vcc_lo
	v_lshlrev_b64 v[6:7], 2, v[7:8]
	v_add_co_u32 v0, vcc_lo, v46, v0
	v_add_co_ci_u32_e32 v1, vcc_lo, v47, v1, vcc_lo
	v_lshlrev_b64 v[8:9], 2, v[9:10]
	v_add_co_u32 v4, vcc_lo, v46, v4
	v_add_co_ci_u32_e32 v5, vcc_lo, v47, v5, vcc_lo
	v_add_co_u32 v6, vcc_lo, v46, v6
	v_add_co_ci_u32_e32 v7, vcc_lo, v47, v7, vcc_lo
	;; [unrolled: 2-line block ×3, first 2 shown]
	s_waitcnt vmcnt(1)
	v_mul_f16_sdwa v10, v20, v21 dst_sel:DWORD dst_unused:UNUSED_PAD src0_sel:DWORD src1_sel:WORD_1
	v_mul_f16_sdwa v39, v19, v22 dst_sel:DWORD dst_unused:UNUSED_PAD src0_sel:DWORD src1_sel:WORD_1
	;; [unrolled: 1-line block ×4, first 2 shown]
	s_waitcnt lgkmcnt(2)
	v_mul_f16_sdwa v42, v54, v21 dst_sel:DWORD dst_unused:UNUSED_PAD src0_sel:DWORD src1_sel:WORD_1
	v_mul_f16_sdwa v43, v48, v24 dst_sel:DWORD dst_unused:UNUSED_PAD src0_sel:DWORD src1_sel:WORD_1
	;; [unrolled: 1-line block ×4, first 2 shown]
	v_fmac_f16_e32 v10, v54, v21
	v_fmac_f16_e32 v39, v52, v22
	;; [unrolled: 1-line block ×4, first 2 shown]
	v_fma_f16 v20, v20, v21, -v42
	v_fma_f16 v11, v11, v24, -v43
	;; [unrolled: 1-line block ×4, first 2 shown]
	s_waitcnt vmcnt(0)
	v_mul_f16_sdwa v21, v15, v26 dst_sel:DWORD dst_unused:UNUSED_PAD src0_sel:DWORD src1_sel:WORD_1
	v_mul_f16_sdwa v22, v16, v25 dst_sel:DWORD dst_unused:UNUSED_PAD src0_sel:DWORD src1_sel:WORD_1
	;; [unrolled: 1-line block ×4, first 2 shown]
	s_waitcnt lgkmcnt(1)
	v_mul_f16_sdwa v42, v55, v25 dst_sel:DWORD dst_unused:UNUSED_PAD src0_sel:DWORD src1_sel:WORD_1
	v_mul_f16_sdwa v43, v49, v28 dst_sel:DWORD dst_unused:UNUSED_PAD src0_sel:DWORD src1_sel:WORD_1
	;; [unrolled: 1-line block ×4, first 2 shown]
	v_sub_f16_e32 v47, v39, v10
	v_fmac_f16_e32 v21, v53, v26
	v_sub_f16_e32 v48, v40, v41
	v_fmac_f16_e32 v22, v55, v25
	;; [unrolled: 2-line block ×3, first 2 shown]
	v_add_f16_e32 v51, v10, v41
	v_fmac_f16_e32 v24, v49, v28
	v_fma_f16 v16, v16, v25, -v42
	v_sub_f16_e32 v25, v10, v39
	v_fma_f16 v17, v17, v28, -v43
	v_sub_f16_e32 v28, v41, v40
	v_fma_f16 v15, v15, v26, -v44
	v_add_f16_e32 v26, v39, v40
	v_fma_f16 v14, v14, v27, -v46
	v_add_f16_e32 v27, v10, v45
	v_sub_f16_e32 v42, v19, v20
	v_sub_f16_e32 v43, v18, v11
	v_add_f16_e32 v44, v20, v11
	v_sub_f16_e32 v52, v20, v19
	v_sub_f16_e32 v53, v11, v18
	v_add_f16_e32 v54, v19, v18
	v_add_f16_e32 v20, v13, v20
	v_sub_f16_e32 v49, v19, v18
	v_sub_f16_e32 v46, v39, v40
	v_add_f16_e32 v47, v47, v48
	v_add_f16_e32 v25, v25, v28
	v_fma_f16 v28, -0.5, v51, v45
	v_fma_f16 v26, -0.5, v26, v45
	v_add_f16_e32 v27, v39, v27
	v_add_f16_e32 v39, v42, v43
	v_fma_f16 v42, -0.5, v44, v13
	v_add_f16_e32 v43, v52, v53
	v_fma_f16 v13, -0.5, v54, v13
	v_add_f16_e32 v19, v19, v20
	v_sub_f16_e32 v20, v21, v22
	v_sub_f16_e32 v44, v23, v24
	;; [unrolled: 1-line block ×8, first 2 shown]
	v_add_f16_e32 v55, v22, v24
	v_add_f16_e32 v57, v16, v17
	;; [unrolled: 1-line block ×4, first 2 shown]
	s_waitcnt lgkmcnt(0)
	v_add_f16_e32 v61, v22, v56
	v_add_f16_e32 v60, v12, v16
	v_sub_f16_e32 v10, v10, v41
	v_sub_f16_e32 v16, v16, v17
	;; [unrolled: 1-line block ×4, first 2 shown]
	v_add_f16_e32 v27, v40, v27
	v_add_f16_e32 v18, v19, v18
	;; [unrolled: 1-line block ×6, first 2 shown]
	v_fmamk_f16 v51, v46, 0x3b9c, v42
	v_fmac_f16_e32 v42, 0xbb9c, v46
	v_fma_f16 v53, -0.5, v57, v12
	v_fma_f16 v12, -0.5, v58, v12
	v_fma_f16 v54, -0.5, v55, v56
	v_fma_f16 v55, -0.5, v59, v56
	v_add_f16_e32 v21, v21, v61
	v_sub_f16_e32 v62, v15, v14
	v_add_f16_e32 v15, v15, v60
	v_fmamk_f16 v52, v10, 0xbb9c, v13
	v_fmac_f16_e32 v13, 0x3b9c, v10
	v_fmac_f16_e32 v51, 0xb8b4, v10
	;; [unrolled: 1-line block ×3, first 2 shown]
	v_add_f16_e32 v10, v18, v11
	v_add_f16_e32 v18, v23, v21
	v_fmamk_f16 v21, v16, 0x3b9c, v55
	v_fmac_f16_e32 v55, 0xbb9c, v16
	v_fmamk_f16 v23, v22, 0xbb9c, v12
	v_fmac_f16_e32 v12, 0x3b9c, v22
	v_fmamk_f16 v11, v62, 0xbb9c, v54
	v_fmac_f16_e32 v54, 0x3b9c, v62
	v_add_f16_e32 v14, v15, v14
	v_fmamk_f16 v15, v63, 0x3b9c, v53
	v_fmac_f16_e32 v53, 0xbb9c, v63
	v_fmamk_f16 v44, v49, 0xbb9c, v28
	v_fmac_f16_e32 v28, 0x3b9c, v49
	;; [unrolled: 2-line block ×3, first 2 shown]
	v_fmac_f16_e32 v55, 0xb8b4, v62
	v_fmac_f16_e32 v12, 0x38b4, v63
	;; [unrolled: 1-line block ×14, first 2 shown]
	v_add_f16_e32 v16, v24, v18
	v_add_f16_e32 v14, v14, v17
	v_fmac_f16_e32 v55, 0x34f2, v20
	v_fmac_f16_e32 v12, 0x34f2, v45
	;; [unrolled: 1-line block ×8, first 2 shown]
	v_add_f16_e32 v27, v41, v27
	v_fmac_f16_e32 v44, 0x34f2, v47
	v_fmac_f16_e32 v28, 0x34f2, v47
	;; [unrolled: 1-line block ×8, first 2 shown]
	v_pack_b32_f16 v14, v14, v16
	v_pack_b32_f16 v12, v12, v55
	;; [unrolled: 1-line block ×10, first 2 shown]
	global_store_dword v[29:30], v14, off
	global_store_dword v[31:32], v12, off
	;; [unrolled: 1-line block ×10, first 2 shown]
.LBB0_15:
	s_endpgm
	.section	.rodata,"a",@progbits
	.p2align	6, 0x0
	.amdhsa_kernel fft_rtc_fwd_len2500_factors_10_5_10_5_wgs_250_tpt_250_halfLds_half_ip_CI_sbrr_dirReg
		.amdhsa_group_segment_fixed_size 0
		.amdhsa_private_segment_fixed_size 0
		.amdhsa_kernarg_size 88
		.amdhsa_user_sgpr_count 6
		.amdhsa_user_sgpr_private_segment_buffer 1
		.amdhsa_user_sgpr_dispatch_ptr 0
		.amdhsa_user_sgpr_queue_ptr 0
		.amdhsa_user_sgpr_kernarg_segment_ptr 1
		.amdhsa_user_sgpr_dispatch_id 0
		.amdhsa_user_sgpr_flat_scratch_init 0
		.amdhsa_user_sgpr_private_segment_size 0
		.amdhsa_wavefront_size32 1
		.amdhsa_uses_dynamic_stack 0
		.amdhsa_system_sgpr_private_segment_wavefront_offset 0
		.amdhsa_system_sgpr_workgroup_id_x 1
		.amdhsa_system_sgpr_workgroup_id_y 0
		.amdhsa_system_sgpr_workgroup_id_z 0
		.amdhsa_system_sgpr_workgroup_info 0
		.amdhsa_system_vgpr_workitem_id 0
		.amdhsa_next_free_vgpr 67
		.amdhsa_next_free_sgpr 23
		.amdhsa_reserve_vcc 1
		.amdhsa_reserve_flat_scratch 0
		.amdhsa_float_round_mode_32 0
		.amdhsa_float_round_mode_16_64 0
		.amdhsa_float_denorm_mode_32 3
		.amdhsa_float_denorm_mode_16_64 3
		.amdhsa_dx10_clamp 1
		.amdhsa_ieee_mode 1
		.amdhsa_fp16_overflow 0
		.amdhsa_workgroup_processor_mode 1
		.amdhsa_memory_ordered 1
		.amdhsa_forward_progress 0
		.amdhsa_shared_vgpr_count 0
		.amdhsa_exception_fp_ieee_invalid_op 0
		.amdhsa_exception_fp_denorm_src 0
		.amdhsa_exception_fp_ieee_div_zero 0
		.amdhsa_exception_fp_ieee_overflow 0
		.amdhsa_exception_fp_ieee_underflow 0
		.amdhsa_exception_fp_ieee_inexact 0
		.amdhsa_exception_int_div_zero 0
	.end_amdhsa_kernel
	.text
.Lfunc_end0:
	.size	fft_rtc_fwd_len2500_factors_10_5_10_5_wgs_250_tpt_250_halfLds_half_ip_CI_sbrr_dirReg, .Lfunc_end0-fft_rtc_fwd_len2500_factors_10_5_10_5_wgs_250_tpt_250_halfLds_half_ip_CI_sbrr_dirReg
                                        ; -- End function
	.section	.AMDGPU.csdata,"",@progbits
; Kernel info:
; codeLenInByte = 7936
; NumSgprs: 25
; NumVgprs: 67
; ScratchSize: 0
; MemoryBound: 0
; FloatMode: 240
; IeeeMode: 1
; LDSByteSize: 0 bytes/workgroup (compile time only)
; SGPRBlocks: 3
; VGPRBlocks: 8
; NumSGPRsForWavesPerEU: 25
; NumVGPRsForWavesPerEU: 67
; Occupancy: 12
; WaveLimiterHint : 1
; COMPUTE_PGM_RSRC2:SCRATCH_EN: 0
; COMPUTE_PGM_RSRC2:USER_SGPR: 6
; COMPUTE_PGM_RSRC2:TRAP_HANDLER: 0
; COMPUTE_PGM_RSRC2:TGID_X_EN: 1
; COMPUTE_PGM_RSRC2:TGID_Y_EN: 0
; COMPUTE_PGM_RSRC2:TGID_Z_EN: 0
; COMPUTE_PGM_RSRC2:TIDIG_COMP_CNT: 0
	.text
	.p2alignl 6, 3214868480
	.fill 48, 4, 3214868480
	.type	__hip_cuid_10f501b678ea4358,@object ; @__hip_cuid_10f501b678ea4358
	.section	.bss,"aw",@nobits
	.globl	__hip_cuid_10f501b678ea4358
__hip_cuid_10f501b678ea4358:
	.byte	0                               ; 0x0
	.size	__hip_cuid_10f501b678ea4358, 1

	.ident	"AMD clang version 19.0.0git (https://github.com/RadeonOpenCompute/llvm-project roc-6.4.0 25133 c7fe45cf4b819c5991fe208aaa96edf142730f1d)"
	.section	".note.GNU-stack","",@progbits
	.addrsig
	.addrsig_sym __hip_cuid_10f501b678ea4358
	.amdgpu_metadata
---
amdhsa.kernels:
  - .args:
      - .actual_access:  read_only
        .address_space:  global
        .offset:         0
        .size:           8
        .value_kind:     global_buffer
      - .offset:         8
        .size:           8
        .value_kind:     by_value
      - .actual_access:  read_only
        .address_space:  global
        .offset:         16
        .size:           8
        .value_kind:     global_buffer
      - .actual_access:  read_only
        .address_space:  global
        .offset:         24
        .size:           8
        .value_kind:     global_buffer
      - .offset:         32
        .size:           8
        .value_kind:     by_value
      - .actual_access:  read_only
        .address_space:  global
        .offset:         40
        .size:           8
        .value_kind:     global_buffer
      - .actual_access:  read_only
        .address_space:  global
        .offset:         48
        .size:           8
        .value_kind:     global_buffer
      - .offset:         56
        .size:           4
        .value_kind:     by_value
      - .actual_access:  read_only
        .address_space:  global
        .offset:         64
        .size:           8
        .value_kind:     global_buffer
      - .actual_access:  read_only
        .address_space:  global
        .offset:         72
        .size:           8
        .value_kind:     global_buffer
      - .address_space:  global
        .offset:         80
        .size:           8
        .value_kind:     global_buffer
    .group_segment_fixed_size: 0
    .kernarg_segment_align: 8
    .kernarg_segment_size: 88
    .language:       OpenCL C
    .language_version:
      - 2
      - 0
    .max_flat_workgroup_size: 250
    .name:           fft_rtc_fwd_len2500_factors_10_5_10_5_wgs_250_tpt_250_halfLds_half_ip_CI_sbrr_dirReg
    .private_segment_fixed_size: 0
    .sgpr_count:     25
    .sgpr_spill_count: 0
    .symbol:         fft_rtc_fwd_len2500_factors_10_5_10_5_wgs_250_tpt_250_halfLds_half_ip_CI_sbrr_dirReg.kd
    .uniform_work_group_size: 1
    .uses_dynamic_stack: false
    .vgpr_count:     67
    .vgpr_spill_count: 0
    .wavefront_size: 32
    .workgroup_processor_mode: 1
amdhsa.target:   amdgcn-amd-amdhsa--gfx1030
amdhsa.version:
  - 1
  - 2
...

	.end_amdgpu_metadata
